;; amdgpu-corpus repo=llvm/llvm-project kind=harvested arch=n/a opt=n/a
// NOTE: Assertions have been autogenerated by utils/update_mc_test_checks.py UTC_ARGS: --unique --sort --version 6
// RUN: not llvm-mc -triple=amdgcn -mcpu=gfx1250 -filetype=null %s 2>&1 | FileCheck --check-prefix=GFX1250-ERR --implicit-check-not=error: --strict-whitespace %s

v_fmaak_f16_e64_dpp v4, v2, v6, 3 row_share:1
// GFX1250-ERR: :[[@LINE-1]]:1: error: e64_dpp variant of this instruction is not supported

v_fmaak_f32_e64_dpp v4, v2, v6, 3 row_share:1
// GFX1250-ERR: :[[@LINE-1]]:1: error: e64_dpp variant of this instruction is not supported

v_fmamk_f16_e64_dpp v4, v2, 3, v6 row_share:1
// GFX1250-ERR: :[[@LINE-1]]:1: error: e64_dpp variant of this instruction is not supported

v_fmamk_f32_e64_dpp v4, v2, 3, v6 row_share:1
// GFX1250-ERR: :[[@LINE-1]]:1: error: e64_dpp variant of this instruction is not supported
